;; amdgpu-corpus repo=ROCm/rocFFT kind=compiled arch=gfx1030 opt=O3
	.text
	.amdgcn_target "amdgcn-amd-amdhsa--gfx1030"
	.amdhsa_code_object_version 6
	.protected	bluestein_single_back_len320_dim1_sp_op_CI_CI ; -- Begin function bluestein_single_back_len320_dim1_sp_op_CI_CI
	.globl	bluestein_single_back_len320_dim1_sp_op_CI_CI
	.p2align	8
	.type	bluestein_single_back_len320_dim1_sp_op_CI_CI,@function
bluestein_single_back_len320_dim1_sp_op_CI_CI: ; @bluestein_single_back_len320_dim1_sp_op_CI_CI
; %bb.0:
	s_load_dwordx4 s[16:19], s[4:5], 0x28
	v_lshrrev_b32_e32 v1, 4, v0
	v_mov_b32_e32 v41, 0
	s_mov_b32 s0, exec_lo
	v_lshl_or_b32 v40, s6, 2, v1
	s_waitcnt lgkmcnt(0)
	v_cmpx_gt_u64_e64 s[16:17], v[40:41]
	s_cbranch_execz .LBB0_2
; %bb.1:
	s_clause 0x1
	s_load_dwordx4 s[0:3], s[4:5], 0x18
	s_load_dwordx4 s[8:11], s[4:5], 0x0
	v_and_b32_e32 v147, 15, v0
	v_mul_u32_u24_e32 v106, 0x140, v1
	v_lshlrev_b32_e32 v42, 3, v147
	v_or_b32_e32 v1, v106, v147
	v_or_b32_e32 v127, 0x900, v42
	;; [unrolled: 1-line block ×5, first 2 shown]
	v_lshlrev_b32_e32 v144, 3, v1
	v_lshl_or_b32 v145, v106, 3, v42
	s_waitcnt lgkmcnt(0)
	s_load_dwordx4 s[12:15], s[0:1], 0x0
	s_add_u32 s6, s8, 0xa00
	s_addc_u32 s7, s9, 0
	s_clause 0x8
	global_load_dwordx2 v[48:49], v42, s[8:9]
	global_load_dwordx2 v[44:45], v42, s[8:9] offset:512
	global_load_dwordx2 v[52:53], v42, s[8:9] offset:768
	;; [unrolled: 1-line block ×6, first 2 shown]
	global_load_dwordx2 v[54:55], v126, s[8:9]
	global_load_dwordx2 v[60:61], v127, s[8:9]
	v_add_nc_u32_e32 v146, 0x800, v145
	s_waitcnt lgkmcnt(0)
	v_mad_u64_u32 v[2:3], null, s14, v40, 0
	v_mad_u64_u32 v[4:5], null, s12, v147, 0
	s_lshl_b64 s[0:1], s[12:13], 8
	v_mad_u64_u32 v[6:7], null, s15, v40, v[3:4]
	v_mad_u64_u32 v[7:8], null, s13, v147, v[5:6]
	v_mov_b32_e32 v3, v6
	s_mulk_i32 s13, 0xf780
	v_lshlrev_b64 v[2:3], 3, v[2:3]
	v_mov_b32_e32 v5, v7
	v_add_co_u32 v2, vcc_lo, s18, v2
	v_lshlrev_b64 v[4:5], 3, v[4:5]
	v_add_co_ci_u32_e32 v3, vcc_lo, s19, v3, vcc_lo
	v_add_co_u32 v2, vcc_lo, v2, v4
	v_add_co_ci_u32_e32 v3, vcc_lo, v3, v5, vcc_lo
	v_add_co_u32 v4, vcc_lo, v2, s0
	v_add_co_ci_u32_e32 v5, vcc_lo, s1, v3, vcc_lo
	global_load_dwordx2 v[2:3], v[2:3], off
	v_add_co_u32 v6, vcc_lo, v4, s0
	v_add_co_ci_u32_e32 v7, vcc_lo, s1, v5, vcc_lo
	global_load_dwordx2 v[4:5], v[4:5], off
	v_add_co_u32 v8, vcc_lo, v6, s0
	v_add_co_ci_u32_e32 v9, vcc_lo, s1, v7, vcc_lo
	s_clause 0x2
	global_load_dwordx2 v[62:63], v42, s[8:9] offset:384
	global_load_dwordx2 v[72:73], v42, s[8:9] offset:256
	;; [unrolled: 1-line block ×3, first 2 shown]
	v_add_co_u32 v10, vcc_lo, v8, s0
	v_add_co_ci_u32_e32 v11, vcc_lo, s1, v9, vcc_lo
	global_load_dwordx2 v[6:7], v[6:7], off
	v_add_co_u32 v12, vcc_lo, v10, s0
	v_add_co_ci_u32_e32 v13, vcc_lo, s1, v11, vcc_lo
	s_clause 0x1
	global_load_dwordx2 v[8:9], v[8:9], off
	global_load_dwordx2 v[10:11], v[10:11], off
	v_add_co_u32 v14, vcc_lo, v12, s0
	v_add_co_ci_u32_e32 v15, vcc_lo, s1, v13, vcc_lo
	global_load_dwordx2 v[66:67], v42, s[8:9] offset:896
	v_add_co_u32 v16, vcc_lo, v14, s0
	v_add_co_ci_u32_e32 v17, vcc_lo, s1, v15, vcc_lo
	global_load_dwordx2 v[12:13], v[12:13], off
	v_add_co_u32 v18, vcc_lo, v16, s0
	v_add_co_ci_u32_e32 v19, vcc_lo, s1, v17, vcc_lo
	global_load_dwordx2 v[74:75], v42, s[8:9] offset:640
	global_load_dwordx2 v[14:15], v[14:15], off
	global_load_dwordx2 v[16:17], v[16:17], off
	v_add_co_u32 v20, vcc_lo, v18, s0
	v_add_co_ci_u32_e32 v21, vcc_lo, s1, v19, vcc_lo
	s_clause 0x2
	global_load_dwordx2 v[70:71], v42, s[8:9] offset:1408
	global_load_dwordx2 v[78:79], v42, s[8:9] offset:1152
	;; [unrolled: 1-line block ×3, first 2 shown]
	global_load_dwordx2 v[18:19], v[18:19], off
	global_load_dwordx2 v[76:77], v42, s[8:9] offset:1664
	v_mad_u64_u32 v[22:23], null, 0xfffff780, s12, v[20:21]
	s_sub_i32 s12, s13, s12
	global_load_dwordx2 v[20:21], v[20:21], off
	v_add_nc_u32_e32 v23, s12, v23
	v_add_co_u32 v24, vcc_lo, v22, s0
	v_add_co_ci_u32_e32 v25, vcc_lo, s1, v23, vcc_lo
	v_add_co_u32 v26, vcc_lo, v24, s0
	global_load_dwordx2 v[22:23], v[22:23], off
	v_add_co_ci_u32_e32 v27, vcc_lo, s1, v25, vcc_lo
	v_add_co_u32 v28, vcc_lo, v26, s0
	global_load_dwordx2 v[24:25], v[24:25], off
	;; [unrolled: 3-line block ×8, first 2 shown]
	v_add_co_ci_u32_e32 v85, vcc_lo, s1, v39, vcc_lo
	global_load_dwordx2 v[80:81], v130, s[8:9]
	global_load_dwordx2 v[38:39], v[38:39], off
	global_load_dwordx2 v[82:83], v43, s[8:9]
	global_load_dwordx2 v[86:87], v[84:85], off
	s_load_dwordx4 s[0:3], s[2:3], 0x0
	v_cmp_gt_u32_e32 vcc_lo, 10, v147
	s_waitcnt vmcnt(30)
	v_mul_f32_e32 v1, v3, v49
	v_mul_f32_e32 v84, v2, v49
	v_fmac_f32_e32 v1, v2, v48
	v_fma_f32 v2, v3, v48, -v84
	s_waitcnt vmcnt(27)
	v_mul_f32_e32 v88, v5, v73
	v_mul_f32_e32 v85, v4, v73
	ds_write_b64 v144, v[1:2]
	v_fmac_f32_e32 v88, v4, v72
	v_fma_f32 v89, v5, v72, -v85
	s_waitcnt vmcnt(25)
	v_mul_f32_e32 v3, v7, v45
	v_mul_f32_e32 v2, v6, v45
	s_waitcnt lgkmcnt(0)
	v_mad_u64_u32 v[84:85], null, s2, v40, 0
	ds_write_b64 v144, v[88:89] offset:256
	v_fmac_f32_e32 v3, v6, v44
	s_waitcnt vmcnt(24)
	v_mul_f32_e32 v6, v8, v53
	s_waitcnt vmcnt(23)
	v_mul_f32_e32 v5, v11, v51
	v_mul_f32_e32 v88, v10, v51
	;; [unrolled: 1-line block ×3, first 2 shown]
	v_fma_f32 v4, v7, v44, -v2
	v_fma_f32 v2, v9, v52, -v6
	v_fmac_f32_e32 v5, v10, v50
	v_fma_f32 v6, v11, v50, -v88
	v_fmac_f32_e32 v1, v8, v52
	s_waitcnt vmcnt(21)
	v_mul_f32_e32 v7, v13, v47
	ds_write_b64 v145, v[3:4] offset:512
	ds_write_b64 v145, v[1:2] offset:768
	v_mul_f32_e32 v2, v12, v47
	ds_write_b64 v145, v[5:6] offset:1024
	s_waitcnt vmcnt(19)
	v_mul_f32_e32 v4, v14, v59
	s_waitcnt vmcnt(18)
	v_mul_f32_e32 v3, v17, v57
	v_mul_f32_e32 v5, v16, v57
	;; [unrolled: 1-line block ×3, first 2 shown]
	v_fmac_f32_e32 v7, v12, v46
	v_fma_f32 v8, v13, v46, -v2
	v_fma_f32 v2, v15, v58, -v4
	v_fmac_f32_e32 v3, v16, v56
	v_fma_f32 v4, v17, v56, -v5
	v_fmac_f32_e32 v1, v14, v58
	s_waitcnt vmcnt(14)
	v_mul_f32_e32 v5, v19, v55
	ds_write_b64 v145, v[7:8] offset:1280
	ds_write_b64 v145, v[1:2] offset:1536
	v_mul_f32_e32 v2, v18, v55
	ds_write_b64 v145, v[3:4] offset:1792
	s_waitcnt vmcnt(12)
	v_mul_f32_e32 v1, v21, v61
	v_mul_f32_e32 v4, v20, v61
	v_fmac_f32_e32 v5, v18, v54
	v_fma_f32 v6, v19, v54, -v2
	v_or_b32_e32 v17, 16, v147
	v_fmac_f32_e32 v1, v20, v60
	v_fma_f32 v2, v21, v60, -v4
	s_waitcnt vmcnt(11)
	v_mul_f32_e32 v3, v23, v65
	v_mul_f32_e32 v7, v22, v65
	ds_write_b64 v145, v[5:6] offset:2048
	ds_write_b64 v145, v[1:2] offset:2304
	v_fmac_f32_e32 v3, v22, v64
	v_fma_f32 v4, v23, v64, -v7
	s_waitcnt vmcnt(10)
	v_mul_f32_e32 v5, v25, v63
	v_mul_f32_e32 v2, v24, v63
	v_mov_b32_e32 v22, v85
	s_waitcnt vmcnt(9)
	v_mul_f32_e32 v1, v27, v75
	ds_write_b64 v144, v[3:4] offset:128
	v_mul_f32_e32 v4, v26, v75
	v_fmac_f32_e32 v5, v24, v62
	v_fma_f32 v6, v25, v62, -v2
	s_waitcnt vmcnt(8)
	v_mul_f32_e32 v3, v29, v67
	v_mul_f32_e32 v8, v28, v67
	v_fmac_f32_e32 v1, v26, v74
	v_fma_f32 v2, v27, v74, -v4
	ds_write_b64 v144, v[5:6] offset:384
	s_waitcnt vmcnt(7)
	v_mul_f32_e32 v7, v31, v79
	v_mul_f32_e32 v9, v30, v79
	v_fmac_f32_e32 v3, v28, v66
	v_fma_f32 v4, v29, v66, -v8
	ds_write_b64 v145, v[1:2] offset:640
	ds_write_b64 v145, v[3:4] offset:896
	v_fmac_f32_e32 v7, v30, v78
	v_fma_f32 v8, v31, v78, -v9
	s_waitcnt vmcnt(6)
	v_mul_f32_e32 v1, v33, v71
	v_mul_f32_e32 v2, v32, v71
	s_waitcnt vmcnt(5)
	v_mul_f32_e32 v3, v35, v77
	v_mul_f32_e32 v4, v34, v77
	ds_write_b64 v145, v[7:8] offset:1152
	s_waitcnt vmcnt(4)
	v_mul_f32_e32 v5, v37, v69
	v_mul_f32_e32 v6, v36, v69
	s_waitcnt vmcnt(2)
	v_mul_f32_e32 v7, v39, v81
	v_mul_f32_e32 v8, v38, v81
	;; [unrolled: 3-line block ×3, first 2 shown]
	v_fmac_f32_e32 v1, v32, v70
	v_fma_f32 v2, v33, v70, -v2
	v_fmac_f32_e32 v3, v34, v76
	v_fma_f32 v4, v35, v76, -v4
	;; [unrolled: 2-line block ×5, first 2 shown]
	v_mad_u64_u32 v[85:86], null, s3, v40, v[22:23]
	ds_write_b64 v145, v[1:2] offset:1408
	ds_write_b64 v145, v[3:4] offset:1664
	;; [unrolled: 1-line block ×5, first 2 shown]
	s_waitcnt lgkmcnt(0)
	s_barrier
	buffer_gl0_inv
	ds_read2_b64 v[1:4], v144 offset1:16
	ds_read2_b64 v[18:21], v145 offset0:64 offset1:80
	ds_read2_b64 v[13:16], v145 offset0:128 offset1:144
	;; [unrolled: 1-line block ×3, first 2 shown]
	ds_read2_b64 v[5:8], v146 offset1:16
	ds_read2_b64 v[22:25], v144 offset0:32 offset1:48
	ds_read2_b64 v[26:29], v145 offset0:96 offset1:112
	;; [unrolled: 1-line block ×5, first 2 shown]
	v_mul_u32_u24_e32 v38, 10, v147
	v_or_b32_e32 v40, 32, v147
	s_waitcnt lgkmcnt(0)
	s_barrier
	buffer_gl0_inv
	v_add_f32_e32 v39, v1, v18
	v_sub_f32_e32 v93, v18, v13
	v_add_f32_e32 v90, v13, v9
	v_sub_f32_e32 v94, v5, v9
	;; [unrolled: 2-line block ×3, first 2 shown]
	v_sub_f32_e32 v97, v9, v5
	v_add_f32_e32 v98, v2, v19
	v_sub_f32_e32 v101, v19, v14
	v_sub_f32_e32 v102, v6, v10
	v_add_f32_e32 v105, v22, v26
	v_add_f32_e32 v107, v30, v34
	v_sub_f32_e32 v110, v26, v30
	v_sub_f32_e32 v111, v86, v34
	v_add_f32_e32 v112, v26, v86
	v_sub_f32_e32 v113, v30, v26
	v_sub_f32_e32 v114, v34, v86
	v_add_f32_e32 v115, v23, v27
	v_add_f32_e32 v116, v31, v35
	;; [unrolled: 1-line block ×11, first 2 shown]
	v_sub_f32_e32 v91, v19, v6
	v_sub_f32_e32 v92, v14, v10
	v_add_f32_e32 v99, v14, v10
	v_sub_f32_e32 v100, v13, v9
	v_add_f32_e32 v103, v19, v6
	v_sub_f32_e32 v19, v14, v19
	v_sub_f32_e32 v108, v27, v87
	;; [unrolled: 1-line block ×7, first 2 shown]
	v_add_f32_e32 v123, v15, v11
	v_sub_f32_e32 v124, v21, v8
	v_sub_f32_e32 v125, v16, v12
	;; [unrolled: 1-line block ×4, first 2 shown]
	v_add_f32_e32 v135, v16, v12
	v_sub_f32_e32 v136, v15, v11
	v_sub_f32_e32 v137, v21, v16
	v_add_f32_e32 v138, v21, v8
	v_sub_f32_e32 v21, v16, v21
	v_sub_f32_e32 v140, v29, v89
	;; [unrolled: 1-line block ×8, first 2 shown]
	v_add_f32_e32 v93, v93, v94
	v_add_f32_e32 v94, v96, v97
	;; [unrolled: 1-line block ×6, first 2 shown]
	v_fma_f32 v39, -0.5, v90, v1
	v_fma_f32 v1, -0.5, v95, v1
	v_add_f32_e32 v14, v98, v14
	v_add_f32_e32 v30, v105, v30
	v_fma_f32 v95, -0.5, v107, v22
	v_fma_f32 v22, -0.5, v112, v22
	v_add_f32_e32 v31, v115, v31
	v_fma_f32 v98, -0.5, v116, v23
	v_fma_f32 v23, -0.5, v120, v23
	v_add_f32_e32 v15, v122, v15
	v_add_f32_e32 v16, v134, v16
	;; [unrolled: 1-line block ×3, first 2 shown]
	v_fma_f32 v110, -0.5, v153, v24
	v_fma_f32 v24, -0.5, v142, v24
	v_add_f32_e32 v33, v148, v33
	v_fma_f32 v113, -0.5, v157, v25
	v_fmac_f32_e32 v25, -0.5, v150
	v_sub_f32_e32 v28, v28, v88
	v_sub_f32_e32 v104, v10, v6
	;; [unrolled: 1-line block ×5, first 2 shown]
	v_add_f32_e32 v131, v20, v7
	v_sub_f32_e32 v133, v11, v7
	v_sub_f32_e32 v151, v8, v12
	;; [unrolled: 1-line block ×7, first 2 shown]
	v_fma_f32 v90, -0.5, v99, v2
	v_fma_f32 v2, -0.5, v103, v2
	;; [unrolled: 1-line block ×3, first 2 shown]
	v_fmac_f32_e32 v4, -0.5, v138
	v_add_f32_e32 v9, v13, v9
	v_add_f32_e32 v10, v14, v10
	v_add_f32_e32 v13, v30, v34
	v_fmamk_f32 v30, v108, 0x3f737871, v95
	v_fmac_f32_e32 v95, 0xbf737871, v108
	v_fmamk_f32 v34, v109, 0xbf737871, v22
	v_fmac_f32_e32 v22, 0x3f737871, v109
	v_add_f32_e32 v14, v31, v35
	v_fmamk_f32 v31, v26, 0xbf737871, v98
	v_fmac_f32_e32 v98, 0x3f737871, v26
	v_fmamk_f32 v35, v117, 0x3f737871, v23
	v_fmac_f32_e32 v23, 0xbf737871, v117
	v_add_f32_e32 v11, v15, v11
	v_add_f32_e32 v12, v16, v12
	;; [unrolled: 1-line block ×3, first 2 shown]
	v_fmamk_f32 v16, v140, 0x3f737871, v110
	v_fmamk_f32 v32, v154, 0xbf737871, v24
	v_add_f32_e32 v33, v33, v37
	v_fmamk_f32 v37, v158, 0x3f737871, v25
	v_sub_f32_e32 v18, v18, v5
	v_fmac_f32_e32 v110, 0xbf737871, v140
	v_fmac_f32_e32 v24, 0x3f737871, v154
	v_fmamk_f32 v36, v28, 0xbf737871, v113
	v_fmac_f32_e32 v113, 0x3f737871, v28
	v_fmac_f32_e32 v25, 0xbf737871, v158
	v_sub_f32_e32 v20, v20, v7
	v_add_f32_e32 v102, v118, v119
	v_add_f32_e32 v27, v27, v121
	v_fma_f32 v99, -0.5, v123, v3
	v_fma_f32 v3, -0.5, v131, v3
	v_add_f32_e32 v111, v141, v155
	v_add_f32_e32 v112, v143, v156
	;; [unrolled: 1-line block ×3, first 2 shown]
	v_fmamk_f32 v115, v91, 0x3f737871, v39
	v_fmac_f32_e32 v39, 0xbf737871, v91
	v_fmamk_f32 v116, v92, 0xbf737871, v1
	v_fmac_f32_e32 v1, 0x3f737871, v92
	v_fmamk_f32 v119, v100, 0x3f737871, v2
	v_fmac_f32_e32 v2, 0xbf737871, v100
	v_fmamk_f32 v123, v136, 0x3f737871, v4
	v_fmac_f32_e32 v4, 0xbf737871, v136
	v_fmac_f32_e32 v30, 0x3f167918, v109
	v_fmac_f32_e32 v95, 0xbf167918, v109
	;; [unrolled: 1-line block ×10, first 2 shown]
	v_add_f32_e32 v114, v149, v159
	v_fmamk_f32 v118, v18, 0xbf737871, v90
	v_fmac_f32_e32 v90, 0x3f737871, v18
	v_fmac_f32_e32 v110, 0xbf167918, v154
	v_fmac_f32_e32 v24, 0xbf167918, v140
	v_fmac_f32_e32 v113, 0x3f167918, v158
	v_fmac_f32_e32 v25, 0x3f167918, v28
	v_add_f32_e32 v19, v19, v104
	v_add_f32_e32 v21, v21, v152
	v_fmamk_f32 v120, v124, 0x3f737871, v99
	v_fmamk_f32 v121, v125, 0xbf737871, v3
	;; [unrolled: 1-line block ×3, first 2 shown]
	v_add_f32_e32 v9, v9, v5
	v_fmac_f32_e32 v115, 0x3f167918, v92
	v_fmac_f32_e32 v39, 0xbf167918, v92
	;; [unrolled: 1-line block ×4, first 2 shown]
	v_add_f32_e32 v10, v10, v6
	v_fmac_f32_e32 v119, 0xbf167918, v18
	v_fmac_f32_e32 v2, 0x3f167918, v18
	v_add_f32_e32 v13, v13, v86
	v_add_f32_e32 v14, v14, v87
	v_fmac_f32_e32 v31, 0xbf167918, v117
	v_add_f32_e32 v7, v11, v7
	v_add_f32_e32 v8, v12, v8
	v_fmac_f32_e32 v123, 0xbf167918, v20
	v_fmac_f32_e32 v4, 0x3f167918, v20
	v_add_f32_e32 v15, v15, v88
	v_add_f32_e32 v18, v33, v89
	v_fmac_f32_e32 v36, 0xbf167918, v158
	v_fmac_f32_e32 v30, 0x3e9e377a, v97
	v_fmac_f32_e32 v95, 0x3e9e377a, v97
	v_fmac_f32_e32 v34, 0x3e9e377a, v101
	v_fmac_f32_e32 v22, 0x3e9e377a, v101
	v_fmac_f32_e32 v98, 0x3e9e377a, v102
	v_fmac_f32_e32 v35, 0x3e9e377a, v27
	v_fmac_f32_e32 v23, 0x3e9e377a, v27
	v_fmac_f32_e32 v16, 0x3e9e377a, v111
	v_fmac_f32_e32 v32, 0x3e9e377a, v112
	v_fmac_f32_e32 v37, 0x3e9e377a, v29
	v_fmac_f32_e32 v99, 0xbf737871, v124
	v_fmac_f32_e32 v3, 0x3f737871, v125
	v_fmac_f32_e32 v105, 0x3f737871, v20
	v_fmac_f32_e32 v118, 0xbf167918, v100
	v_fmac_f32_e32 v90, 0x3f167918, v100
	v_fmac_f32_e32 v110, 0x3e9e377a, v111
	v_fmac_f32_e32 v24, 0x3e9e377a, v112
	v_fmac_f32_e32 v113, 0x3e9e377a, v114
	v_fmac_f32_e32 v25, 0x3e9e377a, v29
	v_add_f32_e32 v103, v128, v129
	v_add_f32_e32 v104, v132, v133
	;; [unrolled: 1-line block ×3, first 2 shown]
	v_fmac_f32_e32 v120, 0x3f167918, v125
	v_fmac_f32_e32 v121, 0x3f167918, v124
	;; [unrolled: 1-line block ×10, first 2 shown]
	v_add_f32_e32 v5, v9, v13
	v_add_f32_e32 v6, v10, v14
	v_sub_f32_e32 v11, v9, v13
	v_sub_f32_e32 v12, v10, v14
	v_fmac_f32_e32 v123, 0x3e9e377a, v21
	v_fmac_f32_e32 v4, 0x3e9e377a, v21
	;; [unrolled: 1-line block ×3, first 2 shown]
	v_add_f32_e32 v13, v7, v15
	v_add_f32_e32 v14, v8, v18
	v_sub_f32_e32 v20, v7, v15
	v_sub_f32_e32 v21, v8, v18
	v_mul_f32_e32 v15, 0x3f4f1bbd, v30
	v_mul_f32_e32 v18, 0x3f737871, v35
	v_mul_f32_e32 v19, 0xbe9e377a, v22
	v_mul_f32_e32 v27, 0xbf4f1bbd, v95
	v_mul_f32_e32 v29, 0xbf167918, v30
	v_mul_f32_e32 v33, 0xbf737871, v34
	v_mul_f32_e32 v86, 0xbe9e377a, v23
	v_mul_f32_e32 v87, 0xbf4f1bbd, v98
	v_mul_f32_e32 v88, 0x3f4f1bbd, v16
	v_mul_f32_e32 v89, 0x3f737871, v37
	v_mul_f32_e32 v93, 0xbf167918, v16
	v_mul_f32_e32 v94, 0xbf737871, v32
	v_fmac_f32_e32 v99, 0xbf167918, v125
	v_fmac_f32_e32 v3, 0xbf167918, v124
	;; [unrolled: 1-line block ×5, first 2 shown]
	v_mul_f32_e32 v91, 0xbe9e377a, v24
	v_mul_f32_e32 v92, 0xbf4f1bbd, v110
	;; [unrolled: 1-line block ×4, first 2 shown]
	v_fmac_f32_e32 v120, 0x3e9e377a, v103
	v_fmac_f32_e32 v121, 0x3e9e377a, v104
	;; [unrolled: 1-line block ×15, first 2 shown]
	v_add_lshl_u32 v149, v106, v38, 3
	v_mul_u32_u24_e32 v38, 10, v17
	v_fmac_f32_e32 v99, 0x3e9e377a, v103
	v_fmac_f32_e32 v3, 0x3e9e377a, v104
	;; [unrolled: 1-line block ×7, first 2 shown]
	v_add_f32_e32 v7, v115, v15
	v_add_f32_e32 v22, v116, v18
	;; [unrolled: 1-line block ×8, first 2 shown]
	v_sub_f32_e32 v26, v115, v15
	v_sub_f32_e32 v32, v39, v27
	;; [unrolled: 1-line block ×6, first 2 shown]
	v_add_f32_e32 v15, v120, v88
	v_add_f32_e32 v34, v121, v89
	v_sub_f32_e32 v86, v120, v88
	v_sub_f32_e32 v88, v121, v89
	;; [unrolled: 1-line block ×4, first 2 shown]
	v_add_lshl_u32 v150, v106, v38, 3
	v_sub_f32_e32 v30, v1, v19
	v_add_f32_e32 v36, v3, v91
	v_add_f32_e32 v37, v4, v96
	v_sub_f32_e32 v1, v3, v91
	v_sub_f32_e32 v3, v99, v92
	;; [unrolled: 1-line block ×5, first 2 shown]
	v_add_f32_e32 v16, v122, v93
	v_add_f32_e32 v18, v99, v92
	;; [unrolled: 1-line block ×4, first 2 shown]
	ds_write_b128 v149, v[5:8]
	ds_write_b128 v149, v[22:25] offset:16
	ds_write_b128 v149, v[9:12] offset:32
	ds_write_b128 v149, v[26:29] offset:48
	ds_write_b128 v149, v[30:33] offset:64
	ds_write_b128 v150, v[13:16]
	ds_write_b128 v150, v[34:37] offset:16
	ds_write_b128 v150, v[18:21] offset:32
	ds_write_b128 v150, v[86:89] offset:48
	ds_write_b128 v150, v[1:4] offset:64
	v_mul_lo_u16 v2, v40, 26
	v_or_b32_e32 v6, 48, v0
	v_mul_lo_u16 v5, v17, 26
	v_or_b32_e32 v7, 64, v147
	v_add_nc_u32_e32 v1, -10, v147
	v_lshrrev_b16 v24, 8, v2
	v_mul_lo_u16 v2, v6, 26
	v_lshrrev_b16 v22, 8, v5
	s_waitcnt lgkmcnt(0)
	v_cndmask_b32_e32 v23, v1, v147, vcc_lo
	s_barrier
	v_lshrrev_b16 v26, 8, v2
	v_mul_lo_u16 v2, 0x67, v7
	v_mul_lo_u16 v0, v22, 10
	v_mul_i32_i24_e32 v3, 24, v23
	v_mul_hi_i32_i24_e32 v1, 24, v23
	v_mul_lo_u16 v10, v26, 10
	v_lshrrev_b16 v27, 10, v2
	v_sub_nc_u16 v25, v17, v0
	v_mul_lo_u16 v0, v24, 10
	v_add_co_u32 v4, vcc_lo, s10, v3
	v_sub_nc_u16 v6, v6, v10
	v_mul_lo_u16 v10, v27, 10
	v_sub_nc_u16 v0, v40, v0
	v_add_co_ci_u32_e32 v5, vcc_lo, s11, v1, vcc_lo
	v_and_b32_e32 v1, 0xff, v25
	v_sub_nc_u16 v10, v7, v10
	v_and_b32_e32 v32, 0xff, v0
	v_and_b32_e32 v28, 0xff, v6
	buffer_gl0_inv
	v_mad_u64_u32 v[8:9], null, v1, 24, s[10:11]
	v_and_b32_e32 v29, 0xff, v10
	v_mad_u64_u32 v[12:13], null, v32, 24, s[10:11]
	v_mad_u64_u32 v[16:17], null, v28, 24, s[10:11]
	;; [unrolled: 1-line block ×3, first 2 shown]
	s_clause 0x9
	global_load_dwordx4 v[0:3], v[4:5], off
	global_load_dwordx2 v[94:95], v[4:5], off offset:16
	global_load_dwordx4 v[4:7], v[8:9], off
	global_load_dwordx2 v[86:87], v[8:9], off offset:16
	;; [unrolled: 2-line block ×5, first 2 shown]
	v_cmp_lt_u32_e32 vcc_lo, 9, v147
	v_mov_b32_e32 v21, 40
	v_mad_u16 v22, v22, 40, v25
	v_add_nc_u32_e32 v30, -8, v147
	v_add_nc_u32_e32 v148, 0x800, v144
	v_cndmask_b32_e64 v20, 0, 40, vcc_lo
	v_mul_u32_u24_sdwa v33, v24, v21 dst_sel:DWORD dst_unused:UNUSED_PAD src0_sel:WORD_0 src1_sel:DWORD
	v_cmp_gt_u64_e32 vcc_lo, 40, v[40:41]
	v_and_b32_e32 v22, 0xff, v22
	v_mad_u64_u32 v[120:121], null, v147, 24, s[10:11]
	v_add_nc_u32_e32 v20, v23, v20
	v_mul_u32_u24_sdwa v23, v26, v21 dst_sel:DWORD dst_unused:UNUSED_PAD src0_sel:WORD_0 src1_sel:DWORD
	v_add_nc_u32_e32 v96, v33, v32
	v_add_lshl_u32 v153, v106, v22, 3
	v_cndmask_b32_e32 v107, v30, v40, vcc_lo
	v_add_lshl_u32 v151, v106, v20, 3
	v_add_nc_u32_e32 v20, v23, v28
	v_mul_u32_u24_sdwa v23, v27, v21 dst_sel:DWORD dst_unused:UNUSED_PAD src0_sel:WORD_0 src1_sel:DWORD
	v_add_lshl_u32 v155, v106, v96, 3
	v_mul_i32_i24_e32 v122, 24, v107
	v_mul_hi_i32_i24_e32 v123, 24, v107
	v_add_lshl_u32 v152, v106, v20, 3
	v_add_nc_u32_e32 v36, v23, v29
	ds_read2_b64 v[20:23], v144 offset0:64 offset1:80
	ds_read2_b64 v[24:27], v144 offset0:160 offset1:176
	;; [unrolled: 1-line block ×4, first 2 shown]
	v_add_lshl_u32 v154, v106, v36, 3
	ds_read2_b64 v[36:39], v148 offset1:16
	ds_read2_b64 v[96:99], v144 offset1:16
	ds_read2_b64 v[100:103], v144 offset0:32 offset1:48
	ds_read2_b64 v[108:111], v144 offset0:192 offset1:208
	;; [unrolled: 1-line block ×4, first 2 shown]
	s_waitcnt vmcnt(0) lgkmcnt(0)
	s_barrier
	buffer_gl0_inv
	v_mul_f32_e32 v104, v23, v1
	v_mul_f32_e32 v105, v22, v1
	;; [unrolled: 1-line block ×30, first 2 shown]
	v_fma_f32 v24, v24, v2, -v124
	v_fmac_f32_e32 v125, v25, v2
	v_fma_f32 v22, v22, v0, -v104
	v_fmac_f32_e32 v105, v23, v0
	;; [unrolled: 2-line block ×15, first 2 shown]
	v_sub_f32_e32 v37, v96, v24
	v_sub_f32_e32 v38, v97, v125
	;; [unrolled: 1-line block ×20, first 2 shown]
	v_fma_f32 v116, v96, 2.0, -v37
	v_fma_f32 v117, v97, 2.0, -v38
	;; [unrolled: 1-line block ×8, first 2 shown]
	v_sub_f32_e32 v22, v37, v24
	v_add_f32_e32 v23, v38, v23
	v_sub_f32_e32 v24, v39, v32
	v_fma_f32 v124, v100, 2.0, -v108
	v_fma_f32 v125, v101, 2.0, -v109
	v_fma_f32 v100, v27, 2.0, -v30
	v_fma_f32 v101, v138, 2.0, -v33
	v_fma_f32 v128, v102, 2.0, -v110
	v_fma_f32 v129, v103, 2.0, -v111
	v_fma_f32 v102, v31, 2.0, -v34
	v_fma_f32 v103, v156, 2.0, -v35
	v_fma_f32 v131, v20, 2.0, -v112
	v_fma_f32 v132, v21, 2.0, -v113
	v_fma_f32 v105, v36, 2.0, -v114
	v_fma_f32 v133, v162, 2.0, -v115
	v_sub_f32_e32 v26, v108, v33
	v_add_f32_e32 v27, v109, v30
	v_sub_f32_e32 v30, v116, v96
	v_sub_f32_e32 v31, v117, v97
	v_add_f32_e32 v25, v104, v25
	v_sub_f32_e32 v28, v110, v35
	v_add_f32_e32 v29, v111, v34
	v_sub_f32_e32 v34, v118, v98
	v_sub_f32_e32 v35, v119, v99
	;; [unrolled: 1-line block ×3, first 2 shown]
	v_add_f32_e32 v21, v113, v114
	v_fma_f32 v33, v38, 2.0, -v23
	v_fma_f32 v36, v39, 2.0, -v24
	v_sub_f32_e32 v38, v124, v100
	v_sub_f32_e32 v39, v125, v101
	;; [unrolled: 1-line block ×6, first 2 shown]
	v_fma_f32 v32, v37, 2.0, -v22
	v_fma_f32 v96, v108, 2.0, -v26
	;; [unrolled: 1-line block ×18, first 2 shown]
	ds_write2_b64 v151, v[30:31], v[22:23] offset0:20 offset1:30
	ds_write2_b64 v151, v[108:109], v[32:33] offset1:10
	ds_write2_b64 v153, v[110:111], v[36:37] offset1:10
	ds_write2_b64 v153, v[34:35], v[24:25] offset0:20 offset1:30
	ds_write2_b64 v155, v[112:113], v[96:97] offset1:10
	ds_write2_b64 v155, v[38:39], v[26:27] offset0:20 offset1:30
	;; [unrolled: 2-line block ×4, first 2 shown]
	v_add_co_u32 v32, vcc_lo, s10, v122
	s_waitcnt lgkmcnt(0)
	s_barrier
	buffer_gl0_inv
	s_clause 0x1
	global_load_dwordx4 v[24:27], v[120:121], off offset:240
	global_load_dwordx2 v[96:97], v[120:121], off offset:256
	v_add_co_ci_u32_e32 v33, vcc_lo, s11, v123, vcc_lo
	s_clause 0x7
	global_load_dwordx4 v[28:31], v[120:121], off offset:624
	global_load_dwordx4 v[20:23], v[32:33], off offset:240
	global_load_dwordx2 v[100:101], v[120:121], off offset:640
	global_load_dwordx2 v[98:99], v[32:33], off offset:256
	global_load_dwordx4 v[32:35], v[120:121], off offset:432
	global_load_dwordx4 v[36:39], v[120:121], off offset:816
	global_load_dwordx2 v[104:105], v[120:121], off offset:448
	global_load_dwordx2 v[102:103], v[120:121], off offset:832
	ds_read2_b64 v[108:111], v144 offset0:160 offset1:176
	ds_read2_b64 v[112:115], v144 offset0:224 offset1:240
	;; [unrolled: 1-line block ×3, first 2 shown]
	ds_read2_b64 v[120:123], v148 offset1:16
	ds_read2_b64 v[131:134], v144 offset0:192 offset1:208
	ds_read2_b64 v[135:138], v144 offset0:128 offset1:144
	;; [unrolled: 1-line block ×3, first 2 shown]
	ds_read2_b64 v[159:162], v144 offset1:16
	ds_read2_b64 v[163:166], v144 offset0:64 offset1:80
	ds_read2_b64 v[167:170], v144 offset0:32 offset1:48
	v_cmp_lt_u64_e32 vcc_lo, 39, v[40:41]
	s_waitcnt vmcnt(0) lgkmcnt(0)
	s_barrier
	buffer_gl0_inv
	v_add_nc_u32_e32 v157, 0x400, v144
	v_cndmask_b32_e64 v40, 0, 0xa0, vcc_lo
	v_add_nc_u32_e32 v40, v40, v107
	v_add_lshl_u32 v158, v106, v40, 3
	v_mul_f32_e32 v124, v111, v31
	v_mul_f32_e32 v40, v109, v27
	;; [unrolled: 1-line block ×30, first 2 shown]
	v_fma_f32 v40, v108, v26, -v40
	v_fmac_f32_e32 v41, v109, v26
	v_fma_f32 v108, v110, v30, -v124
	v_fmac_f32_e32 v125, v111, v30
	;; [unrolled: 2-line block ×5, first 2 shown]
	v_fmac_f32_e32 v189, v166, v24
	v_fma_f32 v115, v165, v24, -v190
	v_fma_f32 v110, v118, v20, -v143
	v_fmac_f32_e32 v156, v119, v20
	v_fma_f32 v116, v122, v98, -v173
	v_fmac_f32_e32 v174, v123, v98
	;; [unrolled: 2-line block ×9, first 2 shown]
	v_sub_f32_e32 v121, v159, v40
	v_sub_f32_e32 v122, v160, v41
	;; [unrolled: 1-line block ×20, first 2 shown]
	v_fma_f32 v135, v159, 2.0, -v121
	v_fma_f32 v136, v160, 2.0, -v122
	;; [unrolled: 1-line block ×4, first 2 shown]
	v_sub_f32_e32 v40, v121, v107
	v_add_f32_e32 v41, v122, v106
	v_fma_f32 v139, v115, 2.0, -v106
	v_fma_f32 v140, v189, 2.0, -v107
	;; [unrolled: 1-line block ×10, first 2 shown]
	v_sub_f32_e32 v106, v123, v111
	v_add_f32_e32 v107, v124, v108
	v_sub_f32_e32 v108, v125, v117
	v_add_f32_e32 v109, v128, v116
	v_fma_f32 v162, v119, 2.0, -v113
	v_fma_f32 v165, v180, 2.0, -v118
	v_sub_f32_e32 v110, v131, v118
	v_add_f32_e32 v111, v132, v113
	v_fma_f32 v163, v163, 2.0, -v133
	v_fma_f32 v164, v164, 2.0, -v134
	;; [unrolled: 1-line block ×4, first 2 shown]
	v_add_f32_e32 v113, v134, v114
	v_fma_f32 v114, v121, 2.0, -v40
	v_fma_f32 v115, v122, 2.0, -v41
	ds_write_b64 v144, v[40:41] offset:960
	v_sub_f32_e32 v40, v135, v139
	v_sub_f32_e32 v41, v136, v140
	;; [unrolled: 1-line block ×7, first 2 shown]
	v_fma_f32 v118, v123, 2.0, -v106
	v_fma_f32 v119, v124, 2.0, -v107
	;; [unrolled: 1-line block ×4, first 2 shown]
	v_sub_f32_e32 v124, v159, v162
	v_sub_f32_e32 v125, v160, v165
	v_fma_f32 v128, v131, 2.0, -v110
	v_fma_f32 v129, v132, 2.0, -v111
	v_sub_f32_e32 v131, v163, v166
	v_sub_f32_e32 v132, v164, v167
	ds_write_b64 v144, v[114:115] offset:320
	v_fma_f32 v114, v135, 2.0, -v40
	v_fma_f32 v115, v136, 2.0, -v41
	ds_write_b64 v144, v[40:41] offset:640
	v_fma_f32 v40, v137, 2.0, -v116
	v_fma_f32 v41, v138, 2.0, -v117
	;; [unrolled: 1-line block ×10, first 2 shown]
	ds_write2_b64 v144, v[114:115], v[40:41] offset1:16
	ds_write_b64 v144, v[118:119] offset:448
	ds_write_b64 v144, v[116:117] offset:768
	;; [unrolled: 1-line block ×3, first 2 shown]
	ds_write2_b64 v158, v[135:136], v[122:123] offset1:40
	ds_write2_b64 v158, v[120:121], v[108:109] offset0:80 offset1:120
	ds_write2_b64 v144, v[137:138], v[139:140] offset0:168 offset1:184
	;; [unrolled: 1-line block ×5, first 2 shown]
	v_add_co_u32 v40, s2, s10, v42
	v_add_co_ci_u32_e64 v41, null, s11, 0, s2
	s_waitcnt lgkmcnt(0)
	v_add_co_u32 v40, vcc_lo, 0x800, v40
	s_barrier
	buffer_gl0_inv
	global_load_dwordx2 v[106:107], v42, s[10:11] offset:1200
	v_add_co_ci_u32_e32 v41, vcc_lo, 0, v41, vcc_lo
	s_clause 0x8
	global_load_dwordx2 v[114:115], v42, s[10:11] offset:1328
	global_load_dwordx2 v[112:113], v42, s[10:11] offset:1456
	;; [unrolled: 1-line block ×6, first 2 shown]
	global_load_dwordx2 v[120:121], v[40:41], off offset:48
	global_load_dwordx2 v[122:123], v[40:41], off offset:176
	;; [unrolled: 1-line block ×3, first 2 shown]
	ds_read2_b64 v[131:134], v144 offset0:160 offset1:176
	ds_read2_b64 v[135:138], v144 offset0:192 offset1:208
	;; [unrolled: 1-line block ×3, first 2 shown]
	ds_read2_b64 v[159:162], v148 offset1:16
	ds_read2_b64 v[163:166], v148 offset0:32 offset1:48
	ds_read2_b64 v[167:170], v144 offset1:16
	ds_read2_b64 v[171:174], v144 offset0:32 offset1:48
	ds_read2_b64 v[175:178], v144 offset0:64 offset1:80
	;; [unrolled: 1-line block ×4, first 2 shown]
	v_add_nc_u32_e32 v156, 0x400, v145
	s_load_dwordx2 s[2:3], s[4:5], 0x38
	s_mov_b32 s4, 0x9999999a
	s_mov_b32 s5, 0x3f699999
	s_waitcnt vmcnt(9) lgkmcnt(0)
	v_mul_f32_e32 v40, v132, v107
	v_mul_f32_e32 v41, v131, v107
	s_waitcnt vmcnt(8)
	v_mul_f32_e32 v128, v134, v115
	v_mul_f32_e32 v129, v133, v115
	s_waitcnt vmcnt(7)
	;; [unrolled: 3-line block ×9, first 2 shown]
	v_mul_f32_e32 v200, v166, v125
	v_mul_f32_e32 v201, v165, v125
	v_fma_f32 v40, v131, v106, -v40
	v_fmac_f32_e32 v41, v132, v106
	v_fma_f32 v128, v133, v114, -v128
	v_fmac_f32_e32 v129, v134, v114
	;; [unrolled: 2-line block ×10, first 2 shown]
	v_sub_f32_e32 v40, v167, v40
	v_sub_f32_e32 v41, v168, v41
	;; [unrolled: 1-line block ×20, first 2 shown]
	v_fma_f32 v163, v167, 2.0, -v40
	v_fma_f32 v164, v168, 2.0, -v41
	;; [unrolled: 1-line block ×20, first 2 shown]
	ds_write_b64 v144, v[163:164]
	ds_write_b64 v145, v[40:41] offset:1280
	ds_write_b64 v144, v[165:166] offset:128
	;; [unrolled: 1-line block ×6, first 2 shown]
	ds_write2_b64 v145, v[133:134], v[135:136] offset0:208 offset1:224
	ds_write2_b64 v145, v[171:172], v[173:174] offset0:64 offset1:80
	;; [unrolled: 1-line block ×6, first 2 shown]
	ds_write_b64 v145, v[161:162] offset:2432
	s_waitcnt lgkmcnt(0)
	s_barrier
	buffer_gl0_inv
	s_clause 0x13
	global_load_dwordx2 v[40:41], v42, s[6:7]
	global_load_dwordx2 v[142:143], v42, s[6:7] offset:256
	global_load_dwordx2 v[163:164], v42, s[6:7] offset:512
	;; [unrolled: 1-line block ×7, first 2 shown]
	global_load_dwordx2 v[175:176], v126, s[6:7]
	global_load_dwordx2 v[177:178], v127, s[6:7]
	global_load_dwordx2 v[179:180], v42, s[6:7] offset:384
	global_load_dwordx2 v[181:182], v42, s[6:7] offset:128
	;; [unrolled: 1-line block ×8, first 2 shown]
	global_load_dwordx2 v[130:131], v130, s[6:7]
	global_load_dwordx2 v[132:133], v43, s[6:7]
	ds_read_b64 v[42:43], v144
	ds_read_b64 v[183:184], v144 offset:256
	s_waitcnt vmcnt(19) lgkmcnt(1)
	v_mul_f32_e32 v159, v43, v41
	v_mul_f32_e32 v160, v42, v41
	s_waitcnt vmcnt(18) lgkmcnt(0)
	v_mul_f32_e32 v185, v184, v143
	v_mul_f32_e32 v186, v183, v143
	v_fma_f32 v159, v42, v40, -v159
	v_fmac_f32_e32 v160, v43, v40
	v_fma_f32 v185, v183, v142, -v185
	v_fmac_f32_e32 v186, v184, v142
	ds_write_b64 v144, v[159:160]
	ds_read2_b64 v[40:43], v144 offset0:64 offset1:96
	ds_read2_b64 v[159:162], v144 offset0:128 offset1:160
	s_waitcnt vmcnt(17) lgkmcnt(1)
	v_mul_f32_e32 v142, v41, v164
	v_mul_f32_e32 v143, v40, v164
	s_waitcnt vmcnt(16)
	v_mul_f32_e32 v183, v43, v166
	v_mul_f32_e32 v164, v42, v166
	s_waitcnt vmcnt(15) lgkmcnt(0)
	v_mul_f32_e32 v184, v160, v168
	v_mul_f32_e32 v166, v159, v168
	s_waitcnt vmcnt(14)
	v_mul_f32_e32 v187, v162, v170
	v_mul_f32_e32 v168, v161, v170
	v_fma_f32 v142, v40, v163, -v142
	v_fmac_f32_e32 v143, v41, v163
	v_fma_f32 v163, v42, v165, -v183
	v_fmac_f32_e32 v164, v43, v165
	v_fma_f32 v165, v159, v167, -v184
	v_fmac_f32_e32 v166, v160, v167
	v_fma_f32 v167, v161, v169, -v187
	v_fmac_f32_e32 v168, v162, v169
	ds_write_b64 v144, v[185:186] offset:256
	ds_write2_b64 v144, v[142:143], v[163:164] offset0:64 offset1:96
	ds_write2_b64 v144, v[165:166], v[167:168] offset0:128 offset1:160
	ds_read_b64 v[40:41], v145 offset:1536
	ds_read_b64 v[42:43], v145 offset:1792
	;; [unrolled: 1-line block ×4, first 2 shown]
	s_waitcnt vmcnt(13) lgkmcnt(3)
	v_mul_f32_e32 v161, v41, v172
	v_mul_f32_e32 v162, v40, v172
	s_waitcnt vmcnt(12) lgkmcnt(2)
	v_mul_f32_e32 v163, v43, v174
	v_mul_f32_e32 v164, v42, v174
	;; [unrolled: 3-line block ×4, first 2 shown]
	v_fma_f32 v161, v40, v171, -v161
	v_fmac_f32_e32 v162, v41, v171
	v_fma_f32 v163, v42, v173, -v163
	v_fmac_f32_e32 v164, v43, v173
	;; [unrolled: 2-line block ×4, first 2 shown]
	ds_write_b64 v145, v[161:162] offset:1536
	ds_write_b64 v145, v[163:164] offset:1792
	;; [unrolled: 1-line block ×4, first 2 shown]
	ds_read_b64 v[40:41], v144 offset:128
	ds_read_b64 v[42:43], v144 offset:384
	s_waitcnt vmcnt(8) lgkmcnt(1)
	v_mul_f32_e32 v142, v41, v182
	v_mul_f32_e32 v143, v40, v182
	s_waitcnt lgkmcnt(0)
	v_mul_f32_e32 v159, v43, v180
	v_mul_f32_e32 v160, v42, v180
	v_fma_f32 v142, v40, v181, -v142
	v_fmac_f32_e32 v143, v41, v181
	v_fma_f32 v159, v42, v179, -v159
	v_fmac_f32_e32 v160, v43, v179
	ds_write_b64 v144, v[142:143] offset:128
	ds_write_b64 v144, v[159:160] offset:384
	ds_read2_b64 v[40:43], v145 offset0:80 offset1:112
	ds_read_b64 v[142:143], v145 offset:1152
	v_mad_u64_u32 v[159:160], null, s0, v147, 0
	s_waitcnt vmcnt(6) lgkmcnt(1)
	v_mul_f32_e32 v161, v41, v139
	v_mul_f32_e32 v162, v40, v139
	;; [unrolled: 1-line block ×4, first 2 shown]
	s_waitcnt vmcnt(4) lgkmcnt(0)
	v_mul_f32_e32 v164, v143, v141
	v_mul_f32_e32 v137, v142, v141
	v_fma_f32 v161, v40, v138, -v161
	v_fmac_f32_e32 v162, v41, v138
	v_fma_f32 v138, v42, v136, -v163
	v_fmac_f32_e32 v139, v43, v136
	;; [unrolled: 2-line block ×3, first 2 shown]
	ds_write2_b64 v145, v[161:162], v[138:139] offset0:80 offset1:112
	ds_write_b64 v145, v[136:137] offset:1152
	ds_read_b64 v[136:137], v144 offset:1408
	v_mad_u64_u32 v[40:41], null, s1, v147, v[160:161]
	v_mov_b32_e32 v160, v40
	v_lshlrev_b64 v[40:41], 3, v[84:85]
	v_lshlrev_b64 v[42:43], 3, v[159:160]
	v_add_co_u32 v40, vcc_lo, s2, v40
	v_add_co_ci_u32_e32 v41, vcc_lo, s3, v41, vcc_lo
	s_waitcnt lgkmcnt(0)
	v_mul_f32_e32 v84, v137, v135
	v_mul_f32_e32 v139, v136, v135
	v_add_co_u32 v40, vcc_lo, v40, v42
	v_add_co_ci_u32_e32 v41, vcc_lo, v41, v43, vcc_lo
	v_fma_f32 v138, v136, v134, -v84
	v_fmac_f32_e32 v139, v137, v134
	s_lshl_b64 s[2:3], s[0:1], 8
	s_mulk_i32 s1, 0xf780
	v_add_co_u32 v42, vcc_lo, v40, s2
	ds_write_b64 v144, v[138:139] offset:1408
	ds_read_b64 v[142:143], v145 offset:1664
	ds_read_b64 v[159:160], v145 offset:1920
	;; [unrolled: 1-line block ×4, first 2 shown]
	v_add_co_ci_u32_e32 v43, vcc_lo, s3, v41, vcc_lo
	v_add_co_u32 v84, vcc_lo, v42, s2
	v_add_co_ci_u32_e32 v85, vcc_lo, s3, v43, vcc_lo
	v_add_co_u32 v134, vcc_lo, v84, s2
	;; [unrolled: 2-line block ×3, first 2 shown]
	v_add_co_ci_u32_e32 v137, vcc_lo, s3, v135, vcc_lo
	s_waitcnt vmcnt(2) lgkmcnt(3)
	v_mul_f32_e32 v147, v143, v129
	v_mul_f32_e32 v166, v142, v129
	s_waitcnt lgkmcnt(2)
	v_mul_f32_e32 v167, v160, v127
	v_mul_f32_e32 v129, v159, v127
	s_waitcnt vmcnt(1) lgkmcnt(1)
	v_mul_f32_e32 v127, v162, v131
	v_mul_f32_e32 v168, v161, v131
	s_waitcnt vmcnt(0) lgkmcnt(0)
	v_mul_f32_e32 v169, v164, v133
	v_mul_f32_e32 v131, v163, v133
	v_fma_f32 v165, v142, v128, -v147
	v_fmac_f32_e32 v166, v143, v128
	v_fma_f32 v128, v159, v126, -v167
	v_fmac_f32_e32 v129, v160, v126
	;; [unrolled: 2-line block ×4, first 2 shown]
	ds_write_b64 v145, v[165:166] offset:1664
	ds_write_b64 v145, v[128:129] offset:1920
	;; [unrolled: 1-line block ×4, first 2 shown]
	s_waitcnt lgkmcnt(0)
	s_barrier
	buffer_gl0_inv
	ds_read2_b64 v[159:162], v144 offset0:64 offset1:96
	ds_read2_b64 v[163:166], v144 offset0:128 offset1:160
	;; [unrolled: 1-line block ×7, first 2 shown]
	ds_read2_b64 v[187:190], v144 offset1:16
	ds_read_b64 v[132:133], v144 offset:1408
	ds_read_b64 v[142:143], v145 offset:2432
	ds_read2_b64 v[191:194], v145 offset0:80 offset1:112
	s_waitcnt lgkmcnt(0)
	s_barrier
	buffer_gl0_inv
	v_add_co_u32 v138, vcc_lo, v136, s2
	v_add_co_ci_u32_e32 v139, vcc_lo, s3, v137, vcc_lo
	v_add_co_u32 v140, vcc_lo, v138, s2
	v_add_co_ci_u32_e32 v141, vcc_lo, s3, v139, vcc_lo
	v_add_co_u32 v126, vcc_lo, v140, s2
	v_add_f32_e32 v211, v183, v161
	v_sub_f32_e32 v198, v162, v166
	v_add_f32_e32 v196, v166, v170
	v_add_f32_e32 v197, v165, v169
	v_sub_f32_e32 v201, v174, v170
	v_add_f32_e32 v208, v187, v159
	;; [unrolled: 3-line block ×3, first 2 shown]
	v_sub_f32_e32 v221, v166, v162
	v_add_f32_e32 v162, v162, v174
	v_sub_f32_e32 v147, v161, v165
	v_sub_f32_e32 v199, v161, v173
	;; [unrolled: 1-line block ×8, first 2 shown]
	v_add_f32_e32 v209, v163, v177
	v_add_f32_e32 v213, v164, v178
	v_sub_f32_e32 v214, v160, v182
	v_sub_f32_e32 v216, v159, v181
	;; [unrolled: 1-line block ×6, first 2 shown]
	v_add_f32_e32 v159, v159, v181
	v_add_f32_e32 v160, v160, v182
	;; [unrolled: 1-line block ×3, first 2 shown]
	v_sub_f32_e32 v222, v177, v181
	v_sub_f32_e32 v223, v178, v182
	;; [unrolled: 1-line block ×4, first 2 shown]
	v_add_f32_e32 v226, v189, v191
	v_add_f32_e32 v227, v190, v192
	;; [unrolled: 1-line block ×5, first 2 shown]
	v_sub_f32_e32 v242, v194, v143
	v_sub_f32_e32 v243, v193, v132
	;; [unrolled: 1-line block ×3, first 2 shown]
	v_add_f32_e32 v246, v186, v194
	v_sub_f32_e32 v247, v194, v133
	v_add_f32_e32 v248, v194, v143
	v_sub_f32_e32 v194, v133, v194
	v_add_f32_e32 v250, v132, v179
	v_add_f32_e32 v163, v208, v163
	;; [unrolled: 1-line block ×5, first 2 shown]
	v_sub_f32_e32 v211, v142, v179
	v_sub_f32_e32 v212, v179, v142
	v_add_f32_e32 v198, v198, v201
	v_sub_f32_e32 v201, v180, v143
	v_fma_f32 v196, -0.5, v196, v184
	v_fma_f32 v197, -0.5, v197, v183
	v_sub_f32_e32 v215, v164, v178
	v_add_f32_e32 v164, v210, v164
	v_fma_f32 v162, -0.5, v162, v184
	v_sub_f32_e32 v195, v173, v169
	v_sub_f32_e32 v229, v176, v168
	v_add_f32_e32 v232, v176, v168
	v_sub_f32_e32 v233, v175, v167
	v_sub_f32_e32 v235, v192, v172
	;; [unrolled: 1-line block ×3, first 2 shown]
	v_add_f32_e32 v238, v192, v172
	v_sub_f32_e32 v239, v191, v175
	v_sub_f32_e32 v191, v175, v191
	;; [unrolled: 1-line block ×4, first 2 shown]
	v_add_f32_e32 v244, v193, v142
	v_sub_f32_e32 v193, v193, v142
	v_sub_f32_e32 v251, v133, v180
	;; [unrolled: 1-line block ×3, first 2 shown]
	v_add_f32_e32 v204, v204, v205
	v_add_f32_e32 v205, v206, v207
	v_fma_f32 v206, -0.5, v209, v187
	v_fma_f32 v207, -0.5, v213, v188
	v_add_f32_e32 v209, v218, v222
	v_add_f32_e32 v213, v219, v223
	v_add_f32_e32 v218, v220, v224
	v_add_f32_e32 v219, v221, v225
	v_fma_f32 v187, -0.5, v159, v187
	v_fma_f32 v188, -0.5, v160, v188
	;; [unrolled: 1-line block ×3, first 2 shown]
	v_add_f32_e32 v159, v226, v175
	v_add_f32_e32 v160, v227, v176
	;; [unrolled: 1-line block ×4, first 2 shown]
	v_fma_f32 v175, -0.5, v208, v186
	v_fmac_f32_e32 v186, -0.5, v248
	v_add_f32_e32 v176, v194, v201
	v_fma_f32 v183, -0.5, v250, v185
	v_add_f32_e32 v201, v243, v211
	v_add_f32_e32 v211, v245, v212
	v_fma_f32 v212, -0.5, v236, v189
	v_fma_f32 v220, -0.5, v228, v189
	v_fmamk_f32 v189, v199, 0x3f737871, v196
	v_fmamk_f32 v221, v200, 0xbf737871, v197
	v_add_f32_e32 v164, v164, v178
	v_fmamk_f32 v178, v202, 0xbf737871, v162
	v_fmac_f32_e32 v162, 0x3f737871, v202
	v_fmac_f32_e32 v196, 0xbf737871, v199
	v_sub_f32_e32 v230, v171, v167
	v_add_f32_e32 v147, v147, v195
	v_sub_f32_e32 v195, v143, v180
	v_fma_f32 v184, -0.5, v244, v185
	v_fma_f32 v208, -0.5, v232, v190
	v_fmac_f32_e32 v190, -0.5, v238
	v_add_f32_e32 v159, v159, v167
	v_add_f32_e32 v160, v160, v168
	;; [unrolled: 1-line block ×4, first 2 shown]
	v_fmamk_f32 v179, v210, 0xbf737871, v186
	v_fmac_f32_e32 v186, 0x3f737871, v210
	v_fmamk_f32 v226, v242, 0xbf737871, v183
	v_fmamk_f32 v227, v193, 0x3f737871, v175
	v_fmac_f32_e32 v175, 0xbf737871, v193
	v_fmac_f32_e32 v189, 0x3f167918, v202
	;; [unrolled: 1-line block ×3, first 2 shown]
	v_add_f32_e32 v163, v163, v177
	v_fmamk_f32 v177, v203, 0x3f737871, v161
	v_fmac_f32_e32 v161, 0xbf737871, v203
	v_fmac_f32_e32 v197, 0x3f737871, v200
	;; [unrolled: 1-line block ×4, first 2 shown]
	v_sub_f32_e32 v231, v167, v171
	v_fmamk_f32 v224, v229, 0x3f737871, v212
	v_fmac_f32_e32 v212, 0xbf737871, v229
	v_fmac_f32_e32 v196, 0xbf167918, v202
	v_sub_f32_e32 v234, v172, v168
	v_sub_f32_e32 v249, v168, v172
	v_add_f32_e32 v185, v239, v230
	v_add_f32_e32 v195, v247, v195
	;; [unrolled: 1-line block ×4, first 2 shown]
	v_fmamk_f32 v169, v214, 0xbf737871, v206
	v_fmamk_f32 v170, v216, 0x3f737871, v207
	;; [unrolled: 1-line block ×3, first 2 shown]
	v_fmac_f32_e32 v184, 0xbf737871, v251
	v_fmac_f32_e32 v183, 0x3f737871, v242
	v_fmamk_f32 v228, v237, 0x3f737871, v208
	v_fmac_f32_e32 v208, 0xbf737871, v237
	v_fmamk_f32 v230, v233, 0xbf737871, v190
	v_fmac_f32_e32 v190, 0x3f737871, v233
	v_add_f32_e32 v171, v159, v171
	v_add_f32_e32 v172, v160, v172
	v_fmac_f32_e32 v186, 0xbf167918, v193
	v_add_f32_e32 v132, v132, v142
	v_add_f32_e32 v133, v133, v143
	v_fmac_f32_e32 v179, 0x3f167918, v193
	v_fmac_f32_e32 v227, 0x3f167918, v210
	;; [unrolled: 1-line block ×6, first 2 shown]
	v_fmamk_f32 v222, v215, 0x3f737871, v187
	v_fmac_f32_e32 v187, 0xbf737871, v215
	v_fmamk_f32 v223, v217, 0xbf737871, v188
	v_fmac_f32_e32 v188, 0x3f737871, v217
	v_fmac_f32_e32 v177, 0xbf167918, v200
	;; [unrolled: 1-line block ×6, first 2 shown]
	v_add_f32_e32 v191, v191, v231
	v_fmac_f32_e32 v206, 0x3f737871, v214
	v_fmac_f32_e32 v207, 0xbf737871, v216
	;; [unrolled: 1-line block ×5, first 2 shown]
	v_add_f32_e32 v194, v240, v234
	v_add_f32_e32 v192, v192, v249
	v_fmamk_f32 v225, v235, 0xbf737871, v220
	v_fmac_f32_e32 v220, 0x3f737871, v235
	v_fmac_f32_e32 v169, 0xbf167918, v215
	;; [unrolled: 1-line block ×3, first 2 shown]
	v_add_f32_e32 v165, v165, v173
	v_add_f32_e32 v166, v166, v174
	v_fmac_f32_e32 v180, 0xbf167918, v242
	v_fmac_f32_e32 v184, 0x3f167918, v242
	;; [unrolled: 1-line block ×8, first 2 shown]
	v_add_f32_e32 v167, v171, v132
	v_add_f32_e32 v168, v172, v133
	v_sub_f32_e32 v173, v171, v132
	v_sub_f32_e32 v174, v172, v133
	v_fmac_f32_e32 v179, 0x3e9e377a, v176
	v_fmac_f32_e32 v227, 0x3e9e377a, v195
	;; [unrolled: 1-line block ×4, first 2 shown]
	v_mul_f32_e32 v132, 0xbf167918, v189
	v_mul_f32_e32 v133, 0x3f167918, v221
	v_fmac_f32_e32 v222, 0xbf167918, v214
	v_fmac_f32_e32 v187, 0x3f167918, v214
	;; [unrolled: 1-line block ×7, first 2 shown]
	v_mul_f32_e32 v142, 0xbf737871, v178
	v_mul_f32_e32 v143, 0x3e9e377a, v178
	v_mul_f32_e32 v147, 0xbf737871, v162
	v_mul_f32_e32 v171, 0xbe9e377a, v162
	v_fmac_f32_e32 v206, 0x3f167918, v215
	v_fmac_f32_e32 v207, 0xbf167918, v217
	;; [unrolled: 1-line block ×4, first 2 shown]
	v_mul_f32_e32 v172, 0xbf167918, v196
	v_mul_f32_e32 v191, 0xbf4f1bbd, v196
	v_add_f32_e32 v163, v163, v181
	v_add_f32_e32 v164, v164, v182
	v_fmac_f32_e32 v225, 0xbf167918, v229
	v_fmac_f32_e32 v220, 0x3f167918, v229
	;; [unrolled: 1-line block ×11, first 2 shown]
	v_mul_f32_e32 v192, 0xbf737871, v186
	v_mul_f32_e32 v193, 0xbe9e377a, v186
	;; [unrolled: 1-line block ×8, first 2 shown]
	v_fmac_f32_e32 v132, 0x3f4f1bbd, v221
	v_fmac_f32_e32 v133, 0x3f4f1bbd, v189
	;; [unrolled: 1-line block ×14, first 2 shown]
	v_add_f32_e32 v159, v163, v165
	v_add_f32_e32 v160, v164, v166
	v_fmac_f32_e32 v225, 0x3e9e377a, v185
	v_fmac_f32_e32 v220, 0x3e9e377a, v185
	;; [unrolled: 1-line block ×10, first 2 shown]
	v_add_f32_e32 v161, v169, v132
	v_add_f32_e32 v162, v170, v133
	;; [unrolled: 1-line block ×6, first 2 shown]
	v_sub_f32_e32 v165, v163, v165
	v_sub_f32_e32 v166, v164, v166
	v_add_f32_e32 v163, v206, v172
	v_add_f32_e32 v164, v207, v191
	v_sub_f32_e32 v179, v169, v132
	v_sub_f32_e32 v181, v222, v142
	;; [unrolled: 1-line block ×8, first 2 shown]
	v_add_f32_e32 v169, v225, v194
	v_sub_f32_e32 v187, v225, v194
	v_sub_f32_e32 v189, v224, v195
	v_add_f32_e32 v191, v224, v195
	v_add_f32_e32 v194, v190, v193
	v_sub_f32_e32 v196, v190, v193
	v_add_f32_e32 v193, v212, v192
	v_sub_f32_e32 v195, v212, v192
	;; [unrolled: 2-line block ×6, first 2 shown]
	ds_write_b128 v149, v[159:162]
	ds_write_b128 v149, v[175:178] offset:16
	ds_write_b128 v149, v[163:166] offset:32
	ds_write_b128 v149, v[179:182] offset:48
	ds_write_b128 v149, v[183:186] offset:64
	ds_write_b128 v150, v[167:170]
	ds_write_b128 v150, v[191:194] offset:16
	ds_write_b128 v150, v[171:174] offset:32
	;; [unrolled: 1-line block ×4, first 2 shown]
	s_waitcnt lgkmcnt(0)
	s_barrier
	buffer_gl0_inv
	ds_read2_b64 v[159:162], v144 offset0:224 offset1:240
	ds_read2_b64 v[163:166], v144 offset0:128 offset1:144
	;; [unrolled: 1-line block ×5, first 2 shown]
	ds_read2_b64 v[179:182], v148 offset1:16
	ds_read2_b64 v[183:186], v144 offset0:64 offset1:80
	ds_read2_b64 v[187:190], v148 offset0:32 offset1:48
	ds_read2_b64 v[191:194], v144 offset1:16
	ds_read2_b64 v[195:198], v144 offset0:32 offset1:48
	s_waitcnt lgkmcnt(0)
	s_barrier
	buffer_gl0_inv
	v_add_co_ci_u32_e32 v127, vcc_lo, s3, v141, vcc_lo
	v_add_co_u32 v128, vcc_lo, v126, s2
	v_add_co_ci_u32_e32 v129, vcc_lo, s3, v127, vcc_lo
	v_add_co_u32 v130, vcc_lo, v128, s2
	v_mul_f32_e32 v201, v5, v172
	v_mul_f32_e32 v205, v3, v176
	;; [unrolled: 1-line block ×30, first 2 shown]
	v_fmac_f32_e32 v142, v94, v161
	v_fma_f32 v94, v94, v162, -v95
	v_fmac_f32_e32 v205, v2, v175
	v_fma_f32 v2, v2, v176, -v3
	;; [unrolled: 2-line block ×15, first 2 shown]
	v_sub_f32_e32 v14, v191, v205
	v_sub_f32_e32 v15, v192, v2
	;; [unrolled: 1-line block ×20, first 2 shown]
	v_fma_f32 v142, v191, 2.0, -v14
	v_fma_f32 v147, v192, 2.0, -v15
	v_fma_f32 v89, v206, 2.0, -v2
	v_fma_f32 v92, v0, 2.0, -v9
	v_add_f32_e32 v0, v14, v9
	v_sub_f32_e32 v1, v15, v2
	v_fma_f32 v150, v193, 2.0, -v17
	v_fma_f32 v159, v194, 2.0, -v19
	v_fma_f32 v93, v201, 2.0, -v5
	v_fma_f32 v166, v4, 2.0, -v6
	v_fma_f32 v160, v195, 2.0, -v86
	v_fma_f32 v161, v196, 2.0, -v87
	v_add_f32_e32 v2, v17, v6
	v_sub_f32_e32 v3, v19, v5
	v_fma_f32 v167, v200, 2.0, -v10
	v_fma_f32 v168, v8, 2.0, -v7
	;; [unrolled: 8-line block ×3, first 2 shown]
	v_sub_f32_e32 v7, v91, v11
	v_fma_f32 v143, v143, 2.0, -v18
	v_fma_f32 v170, v16, 2.0, -v88
	v_sub_f32_e32 v10, v142, v89
	v_sub_f32_e32 v11, v147, v92
	v_add_f32_e32 v6, v90, v13
	v_fma_f32 v12, v14, 2.0, -v0
	v_fma_f32 v13, v15, 2.0, -v1
	v_sub_f32_e32 v14, v150, v93
	v_sub_f32_e32 v15, v159, v166
	;; [unrolled: 1-line block ×3, first 2 shown]
	v_fma_f32 v16, v17, 2.0, -v2
	v_fma_f32 v17, v19, 2.0, -v3
	v_sub_f32_e32 v18, v160, v167
	v_sub_f32_e32 v19, v161, v168
	v_add_f32_e32 v8, v94, v88
	v_sub_f32_e32 v88, v162, v149
	v_sub_f32_e32 v89, v163, v169
	;; [unrolled: 1-line block ×4, first 2 shown]
	v_fma_f32 v142, v142, 2.0, -v10
	v_fma_f32 v143, v147, 2.0, -v11
	ds_write2_b64 v151, v[10:11], v[0:1] offset0:20 offset1:30
	v_fma_f32 v0, v150, 2.0, -v14
	v_fma_f32 v1, v159, 2.0, -v15
	;; [unrolled: 1-line block ×14, first 2 shown]
	ds_write2_b64 v151, v[142:143], v[12:13] offset1:10
	ds_write2_b64 v153, v[0:1], v[16:17] offset1:10
	ds_write2_b64 v153, v[14:15], v[2:3] offset0:20 offset1:30
	ds_write2_b64 v155, v[10:11], v[86:87] offset1:10
	ds_write2_b64 v155, v[18:19], v[4:5] offset0:20 offset1:30
	;; [unrolled: 2-line block ×4, first 2 shown]
	s_waitcnt lgkmcnt(0)
	s_barrier
	buffer_gl0_inv
	ds_read2_b64 v[4:7], v144 offset0:64 offset1:80
	ds_read2_b64 v[8:11], v144 offset0:160 offset1:176
	;; [unrolled: 1-line block ×3, first 2 shown]
	ds_read2_b64 v[16:19], v148 offset1:16
	ds_read2_b64 v[86:89], v144 offset0:224 offset1:240
	ds_read2_b64 v[90:93], v144 offset0:192 offset1:208
	;; [unrolled: 1-line block ×4, first 2 shown]
	ds_read2_b64 v[163:166], v144 offset1:16
	ds_read2_b64 v[167:170], v144 offset0:32 offset1:48
	s_waitcnt lgkmcnt(0)
	s_barrier
	buffer_gl0_inv
	v_add_co_ci_u32_e32 v131, vcc_lo, s3, v129, vcc_lo
	v_mad_u64_u32 v[132:133], null, 0xfffff780, s0, v[130:131]
	s_sub_i32 s0, s1, s0
	v_mul_f32_e32 v172, v97, v89
	v_mul_f32_e32 v97, v97, v88
	;; [unrolled: 1-line block ×30, first 2 shown]
	v_fmac_f32_e32 v94, v24, v6
	v_fma_f32 v6, v24, v7, -v25
	v_fmac_f32_e32 v95, v26, v8
	v_fma_f32 v7, v26, v9, -v27
	;; [unrolled: 2-line block ×15, first 2 shown]
	v_sub_f32_e32 v21, v163, v95
	v_sub_f32_e32 v22, v164, v7
	;; [unrolled: 1-line block ×20, first 2 shown]
	v_fma_f32 v34, v163, 2.0, -v21
	v_fma_f32 v35, v164, 2.0, -v22
	;; [unrolled: 1-line block ×8, first 2 shown]
	v_add_f32_e32 v6, v21, v16
	v_sub_f32_e32 v7, v22, v7
	v_add_f32_e32 v8, v23, v8
	v_sub_f32_e32 v9, v24, v25
	v_fma_f32 v39, v167, 2.0, -v26
	v_fma_f32 v86, v168, 2.0, -v27
	;; [unrolled: 1-line block ×4, first 2 shown]
	v_add_f32_e32 v10, v26, v12
	v_sub_f32_e32 v11, v27, v11
	v_fma_f32 v88, v169, 2.0, -v28
	v_fma_f32 v89, v170, 2.0, -v29
	;; [unrolled: 1-line block ×8, first 2 shown]
	v_add_f32_e32 v12, v28, v14
	v_add_f32_e32 v4, v32, v19
	v_sub_f32_e32 v14, v34, v20
	v_sub_f32_e32 v15, v35, v30
	;; [unrolled: 1-line block ×6, first 2 shown]
	v_fma_f32 v16, v21, 2.0, -v6
	v_fma_f32 v17, v22, 2.0, -v7
	;; [unrolled: 1-line block ×4, first 2 shown]
	v_sub_f32_e32 v22, v39, v25
	v_sub_f32_e32 v23, v86, v87
	v_fma_f32 v24, v26, 2.0, -v10
	v_fma_f32 v25, v27, 2.0, -v11
	v_sub_f32_e32 v26, v88, v90
	v_sub_f32_e32 v27, v89, v91
	;; [unrolled: 1-line block ×4, first 2 shown]
	ds_write_b64 v144, v[6:7] offset:960
	v_fma_f32 v6, v34, 2.0, -v14
	v_fma_f32 v7, v35, 2.0, -v15
	;; [unrolled: 1-line block ×14, first 2 shown]
	ds_write_b64 v144, v[16:17] offset:320
	ds_write_b64 v144, v[14:15] offset:640
	ds_write2_b64 v144, v[6:7], v[34:35] offset1:16
	ds_write_b64 v144, v[20:21] offset:448
	ds_write_b64 v144, v[18:19] offset:768
	;; [unrolled: 1-line block ×3, first 2 shown]
	ds_write2_b64 v158, v[36:37], v[24:25] offset1:40
	ds_write2_b64 v158, v[22:23], v[10:11] offset0:80 offset1:120
	ds_write2_b64 v144, v[38:39], v[86:87] offset0:168 offset1:184
	;; [unrolled: 1-line block ×5, first 2 shown]
	s_waitcnt lgkmcnt(0)
	s_barrier
	buffer_gl0_inv
	ds_read2_b64 v[10:13], v144 offset0:160 offset1:176
	ds_read2_b64 v[14:17], v144 offset0:192 offset1:208
	;; [unrolled: 1-line block ×3, first 2 shown]
	ds_read2_b64 v[22:25], v148 offset1:16
	ds_read2_b64 v[26:29], v144 offset1:16
	ds_read2_b64 v[30:33], v144 offset0:32 offset1:48
	ds_read2_b64 v[34:37], v148 offset0:32 offset1:48
	;; [unrolled: 1-line block ×5, first 2 shown]
	v_add_nc_u32_e32 v133, s0, v133
	v_add_co_u32 v0, vcc_lo, v132, s2
	v_add_co_ci_u32_e32 v1, vcc_lo, s3, v133, vcc_lo
	v_add_co_u32 v2, vcc_lo, v0, s2
	v_add_co_ci_u32_e32 v3, vcc_lo, s3, v1, vcc_lo
	;; [unrolled: 2-line block ×3, first 2 shown]
	s_waitcnt lgkmcnt(9)
	v_mul_f32_e32 v38, v107, v11
	v_mul_f32_e32 v39, v107, v10
	v_mul_f32_e32 v98, v115, v13
	v_mul_f32_e32 v99, v115, v12
	s_waitcnt lgkmcnt(8)
	v_mul_f32_e32 v100, v113, v15
	v_mul_f32_e32 v101, v113, v14
	v_mul_f32_e32 v102, v111, v17
	v_mul_f32_e32 v103, v111, v16
	;; [unrolled: 5-line block ×5, first 2 shown]
	v_fmac_f32_e32 v38, v106, v10
	v_fma_f32 v11, v106, v11, -v39
	v_fmac_f32_e32 v98, v114, v12
	v_fma_f32 v13, v114, v13, -v99
	;; [unrolled: 2-line block ×10, first 2 shown]
	v_sub_f32_e32 v10, v26, v38
	v_sub_f32_e32 v11, v27, v11
	;; [unrolled: 1-line block ×8, first 2 shown]
	s_waitcnt lgkmcnt(2)
	v_sub_f32_e32 v18, v86, v104
	v_sub_f32_e32 v19, v87, v19
	v_sub_f32_e32 v20, v88, v107
	v_sub_f32_e32 v21, v89, v21
	s_waitcnt lgkmcnt(1)
	v_sub_f32_e32 v22, v90, v111
	v_sub_f32_e32 v23, v91, v23
	v_sub_f32_e32 v24, v92, v115
	v_sub_f32_e32 v25, v93, v25
	s_waitcnt lgkmcnt(0)
	v_sub_f32_e32 v34, v94, v119
	v_sub_f32_e32 v35, v95, v35
	v_sub_f32_e32 v36, v96, v123
	v_sub_f32_e32 v37, v97, v37
	v_fma_f32 v26, v26, 2.0, -v10
	v_fma_f32 v27, v27, 2.0, -v11
	v_fma_f32 v28, v28, 2.0, -v12
	v_fma_f32 v29, v29, 2.0, -v13
	v_fma_f32 v30, v30, 2.0, -v14
	v_fma_f32 v31, v31, 2.0, -v15
	v_fma_f32 v32, v32, 2.0, -v16
	v_fma_f32 v33, v33, 2.0, -v17
	v_fma_f32 v38, v86, 2.0, -v18
	v_fma_f32 v39, v87, 2.0, -v19
	v_fma_f32 v86, v88, 2.0, -v20
	v_fma_f32 v87, v89, 2.0, -v21
	v_fma_f32 v88, v90, 2.0, -v22
	v_fma_f32 v89, v91, 2.0, -v23
	v_fma_f32 v90, v92, 2.0, -v24
	v_fma_f32 v91, v93, 2.0, -v25
	v_fma_f32 v92, v94, 2.0, -v34
	v_fma_f32 v93, v95, 2.0, -v35
	v_fma_f32 v94, v96, 2.0, -v36
	v_fma_f32 v95, v97, 2.0, -v37
	ds_write_b64 v144, v[10:11] offset:1280
	ds_write2_b64 v144, v[26:27], v[28:29] offset1:16
	ds_write_b64 v144, v[12:13] offset:1408
	ds_write_b64 v144, v[30:31] offset:256
	;; [unrolled: 1-line block ×7, first 2 shown]
	ds_write2_b64 v145, v[18:19], v[20:21] offset0:224 offset1:240
	ds_write_b64 v144, v[88:89] offset:768
	ds_write_b64 v145, v[90:91] offset:896
	ds_write2_b64 v146, v[22:23], v[24:25] offset1:16
	ds_write_b64 v144, v[92:93] offset:1024
	ds_write_b64 v145, v[94:95] offset:1152
	ds_write2_b64 v146, v[34:35], v[36:37] offset0:32 offset1:48
	s_waitcnt lgkmcnt(0)
	s_barrier
	buffer_gl0_inv
	ds_read2_b64 v[10:13], v144 offset1:16
	ds_read2_b64 v[14:17], v144 offset0:32 offset1:48
	ds_read2_b64 v[18:21], v144 offset0:64 offset1:96
	;; [unrolled: 1-line block ×8, first 2 shown]
	ds_read_b64 v[98:99], v144 offset:1408
	ds_read_b64 v[100:101], v145 offset:2432
	v_add_co_u32 v6, vcc_lo, v4, s2
	v_add_co_ci_u32_e32 v7, vcc_lo, s3, v5, vcc_lo
	v_add_co_u32 v8, vcc_lo, v6, s2
	v_add_co_ci_u32_e32 v9, vcc_lo, s3, v7, vcc_lo
	;; [unrolled: 2-line block ×3, first 2 shown]
	s_waitcnt lgkmcnt(5)
	v_mul_f32_e32 v109, v57, v33
	v_mul_f32_e32 v57, v57, v32
	;; [unrolled: 1-line block ×18, first 2 shown]
	v_fmac_f32_e32 v102, v48, v10
	v_fma_f32 v48, v48, v11, -v49
	v_mul_f32_e32 v113, v63, v17
	v_mul_f32_e32 v63, v63, v16
	v_fmac_f32_e32 v103, v72, v14
	v_fma_f32 v49, v72, v15, -v73
	v_fmac_f32_e32 v104, v44, v18
	v_fma_f32 v44, v44, v19, -v45
	s_waitcnt lgkmcnt(4)
	v_mul_f32_e32 v110, v55, v37
	v_mul_f32_e32 v55, v55, v36
	v_fmac_f32_e32 v105, v52, v20
	v_fma_f32 v45, v52, v21, -v53
	s_waitcnt lgkmcnt(3)
	v_mul_f32_e32 v111, v61, v89
	v_mul_f32_e32 v61, v61, v88
	s_waitcnt lgkmcnt(2)
	v_mul_f32_e32 v114, v75, v91
	v_mul_f32_e32 v75, v75, v90
	;; [unrolled: 1-line block ×4, first 2 shown]
	v_fmac_f32_e32 v106, v50, v22
	v_fma_f32 v50, v50, v23, -v51
	v_mul_f32_e32 v118, v77, v31
	v_mul_f32_e32 v77, v77, v30
	v_fmac_f32_e32 v107, v46, v24
	v_fma_f32 v46, v46, v25, -v47
	v_fmac_f32_e32 v108, v58, v28
	v_fma_f32 v47, v58, v29, -v59
	;; [unrolled: 2-line block ×3, first 2 shown]
	v_cvt_f64_f32_e32 v[10:11], v102
	v_cvt_f64_f32_e32 v[12:13], v48
	v_mul_f32_e32 v119, v69, v35
	v_mul_f32_e32 v69, v69, v34
	v_fmac_f32_e32 v113, v62, v16
	v_fma_f32 v62, v62, v17, -v63
	v_cvt_f64_f32_e32 v[14:15], v103
	v_cvt_f64_f32_e32 v[16:17], v49
	v_fmac_f32_e32 v109, v56, v32
	v_fma_f32 v51, v56, v33, -v57
	v_cvt_f64_f32_e32 v[18:19], v104
	v_cvt_f64_f32_e32 v[20:21], v44
	v_mul_f32_e32 v115, v67, v93
	v_mul_f32_e32 v67, v67, v92
	v_fmac_f32_e32 v110, v54, v36
	v_fma_f32 v52, v54, v37, -v55
	v_cvt_f64_f32_e32 v[22:23], v105
	v_cvt_f64_f32_e32 v[24:25], v45
	v_fmac_f32_e32 v111, v60, v88
	v_fma_f32 v54, v60, v89, -v61
	v_fmac_f32_e32 v114, v74, v90
	v_fma_f32 v72, v74, v91, -v75
	;; [unrolled: 2-line block ×3, first 2 shown]
	v_cvt_f64_f32_e32 v[26:27], v106
	v_cvt_f64_f32_e32 v[28:29], v50
	s_waitcnt lgkmcnt(1)
	v_mul_f32_e32 v117, v71, v99
	v_mul_f32_e32 v71, v71, v98
	v_fmac_f32_e32 v118, v76, v30
	v_fma_f32 v88, v76, v31, -v77
	v_cvt_f64_f32_e32 v[30:31], v107
	v_cvt_f64_f32_e32 v[32:33], v46
	v_fmac_f32_e32 v119, v68, v34
	v_fma_f32 v89, v68, v35, -v69
	v_cvt_f64_f32_e32 v[34:35], v108
	v_cvt_f64_f32_e32 v[36:37], v47
	;; [unrolled: 1-line block ×4, first 2 shown]
	v_mul_f32_e32 v120, v81, v87
	v_mul_f32_e32 v81, v81, v86
	v_fmac_f32_e32 v115, v66, v92
	v_fma_f32 v73, v66, v93, -v67
	v_cvt_f64_f32_e32 v[48:49], v110
	v_cvt_f64_f32_e32 v[50:51], v52
	s_waitcnt lgkmcnt(0)
	v_mul_f32_e32 v121, v83, v101
	v_mul_f32_e32 v83, v83, v100
	v_cvt_f64_f32_e32 v[52:53], v111
	v_cvt_f64_f32_e32 v[54:55], v54
	v_fmac_f32_e32 v117, v70, v98
	v_fma_f32 v78, v70, v99, -v71
	v_cvt_f64_f32_e32 v[56:57], v112
	v_cvt_f64_f32_e32 v[58:59], v58
	;; [unrolled: 1-line block ×6, first 2 shown]
	v_fmac_f32_e32 v120, v80, v86
	v_fma_f32 v92, v80, v87, -v81
	v_cvt_f64_f32_e32 v[68:69], v115
	v_cvt_f64_f32_e32 v[70:71], v73
	v_fmac_f32_e32 v121, v82, v100
	v_fma_f32 v100, v82, v101, -v83
	v_cvt_f64_f32_e32 v[72:73], v116
	v_cvt_f64_f32_e32 v[74:75], v74
	;; [unrolled: 1-line block ×12, first 2 shown]
	v_mul_f64 v[10:11], v[10:11], s[4:5]
	v_mul_f64 v[12:13], v[12:13], s[4:5]
	;; [unrolled: 1-line block ×40, first 2 shown]
	v_cvt_f32_f64_e32 v10, v[10:11]
	v_cvt_f32_f64_e32 v11, v[12:13]
	;; [unrolled: 1-line block ×20, first 2 shown]
	v_add_co_u32 v94, vcc_lo, v38, s2
	v_cvt_f32_f64_e32 v30, v[56:57]
	v_cvt_f32_f64_e32 v31, v[58:59]
	;; [unrolled: 1-line block ×4, first 2 shown]
	v_add_co_ci_u32_e32 v95, vcc_lo, s3, v39, vcc_lo
	v_cvt_f32_f64_e32 v34, v[64:65]
	v_cvt_f32_f64_e32 v35, v[66:67]
	;; [unrolled: 1-line block ×6, first 2 shown]
	v_add_co_u32 v96, vcc_lo, v94, s2
	v_cvt_f32_f64_e32 v46, v[76:77]
	v_cvt_f32_f64_e32 v47, v[78:79]
	;; [unrolled: 1-line block ×4, first 2 shown]
	v_add_co_ci_u32_e32 v97, vcc_lo, s3, v95, vcc_lo
	v_cvt_f32_f64_e32 v50, v[86:87]
	v_cvt_f32_f64_e32 v51, v[88:89]
	;; [unrolled: 1-line block ×6, first 2 shown]
	v_add_co_u32 v56, vcc_lo, v96, s2
	v_add_co_ci_u32_e32 v57, vcc_lo, s3, v97, vcc_lo
	global_store_dwordx2 v[40:41], v[10:11], off
	global_store_dwordx2 v[42:43], v[12:13], off
	;; [unrolled: 1-line block ×20, first 2 shown]
.LBB0_2:
	s_endpgm
	.section	.rodata,"a",@progbits
	.p2align	6, 0x0
	.amdhsa_kernel bluestein_single_back_len320_dim1_sp_op_CI_CI
		.amdhsa_group_segment_fixed_size 10240
		.amdhsa_private_segment_fixed_size 0
		.amdhsa_kernarg_size 104
		.amdhsa_user_sgpr_count 6
		.amdhsa_user_sgpr_private_segment_buffer 1
		.amdhsa_user_sgpr_dispatch_ptr 0
		.amdhsa_user_sgpr_queue_ptr 0
		.amdhsa_user_sgpr_kernarg_segment_ptr 1
		.amdhsa_user_sgpr_dispatch_id 0
		.amdhsa_user_sgpr_flat_scratch_init 0
		.amdhsa_user_sgpr_private_segment_size 0
		.amdhsa_wavefront_size32 1
		.amdhsa_uses_dynamic_stack 0
		.amdhsa_system_sgpr_private_segment_wavefront_offset 0
		.amdhsa_system_sgpr_workgroup_id_x 1
		.amdhsa_system_sgpr_workgroup_id_y 0
		.amdhsa_system_sgpr_workgroup_id_z 0
		.amdhsa_system_sgpr_workgroup_info 0
		.amdhsa_system_vgpr_workitem_id 0
		.amdhsa_next_free_vgpr 252
		.amdhsa_next_free_sgpr 20
		.amdhsa_reserve_vcc 1
		.amdhsa_reserve_flat_scratch 0
		.amdhsa_float_round_mode_32 0
		.amdhsa_float_round_mode_16_64 0
		.amdhsa_float_denorm_mode_32 3
		.amdhsa_float_denorm_mode_16_64 3
		.amdhsa_dx10_clamp 1
		.amdhsa_ieee_mode 1
		.amdhsa_fp16_overflow 0
		.amdhsa_workgroup_processor_mode 1
		.amdhsa_memory_ordered 1
		.amdhsa_forward_progress 0
		.amdhsa_shared_vgpr_count 0
		.amdhsa_exception_fp_ieee_invalid_op 0
		.amdhsa_exception_fp_denorm_src 0
		.amdhsa_exception_fp_ieee_div_zero 0
		.amdhsa_exception_fp_ieee_overflow 0
		.amdhsa_exception_fp_ieee_underflow 0
		.amdhsa_exception_fp_ieee_inexact 0
		.amdhsa_exception_int_div_zero 0
	.end_amdhsa_kernel
	.text
.Lfunc_end0:
	.size	bluestein_single_back_len320_dim1_sp_op_CI_CI, .Lfunc_end0-bluestein_single_back_len320_dim1_sp_op_CI_CI
                                        ; -- End function
	.section	.AMDGPU.csdata,"",@progbits
; Kernel info:
; codeLenInByte = 14060
; NumSgprs: 22
; NumVgprs: 252
; ScratchSize: 0
; MemoryBound: 0
; FloatMode: 240
; IeeeMode: 1
; LDSByteSize: 10240 bytes/workgroup (compile time only)
; SGPRBlocks: 2
; VGPRBlocks: 31
; NumSGPRsForWavesPerEU: 22
; NumVGPRsForWavesPerEU: 252
; Occupancy: 4
; WaveLimiterHint : 1
; COMPUTE_PGM_RSRC2:SCRATCH_EN: 0
; COMPUTE_PGM_RSRC2:USER_SGPR: 6
; COMPUTE_PGM_RSRC2:TRAP_HANDLER: 0
; COMPUTE_PGM_RSRC2:TGID_X_EN: 1
; COMPUTE_PGM_RSRC2:TGID_Y_EN: 0
; COMPUTE_PGM_RSRC2:TGID_Z_EN: 0
; COMPUTE_PGM_RSRC2:TIDIG_COMP_CNT: 0
	.text
	.p2alignl 6, 3214868480
	.fill 48, 4, 3214868480
	.type	__hip_cuid_f6d664a28dbf6712,@object ; @__hip_cuid_f6d664a28dbf6712
	.section	.bss,"aw",@nobits
	.globl	__hip_cuid_f6d664a28dbf6712
__hip_cuid_f6d664a28dbf6712:
	.byte	0                               ; 0x0
	.size	__hip_cuid_f6d664a28dbf6712, 1

	.ident	"AMD clang version 19.0.0git (https://github.com/RadeonOpenCompute/llvm-project roc-6.4.0 25133 c7fe45cf4b819c5991fe208aaa96edf142730f1d)"
	.section	".note.GNU-stack","",@progbits
	.addrsig
	.addrsig_sym __hip_cuid_f6d664a28dbf6712
	.amdgpu_metadata
---
amdhsa.kernels:
  - .args:
      - .actual_access:  read_only
        .address_space:  global
        .offset:         0
        .size:           8
        .value_kind:     global_buffer
      - .actual_access:  read_only
        .address_space:  global
        .offset:         8
        .size:           8
        .value_kind:     global_buffer
      - .actual_access:  read_only
        .address_space:  global
        .offset:         16
        .size:           8
        .value_kind:     global_buffer
      - .actual_access:  read_only
        .address_space:  global
        .offset:         24
        .size:           8
        .value_kind:     global_buffer
      - .actual_access:  read_only
        .address_space:  global
        .offset:         32
        .size:           8
        .value_kind:     global_buffer
      - .offset:         40
        .size:           8
        .value_kind:     by_value
      - .address_space:  global
        .offset:         48
        .size:           8
        .value_kind:     global_buffer
      - .address_space:  global
        .offset:         56
        .size:           8
        .value_kind:     global_buffer
      - .address_space:  global
        .offset:         64
        .size:           8
        .value_kind:     global_buffer
      - .address_space:  global
        .offset:         72
        .size:           8
        .value_kind:     global_buffer
      - .offset:         80
        .size:           4
        .value_kind:     by_value
      - .address_space:  global
        .offset:         88
        .size:           8
        .value_kind:     global_buffer
      - .address_space:  global
        .offset:         96
        .size:           8
        .value_kind:     global_buffer
    .group_segment_fixed_size: 10240
    .kernarg_segment_align: 8
    .kernarg_segment_size: 104
    .language:       OpenCL C
    .language_version:
      - 2
      - 0
    .max_flat_workgroup_size: 64
    .name:           bluestein_single_back_len320_dim1_sp_op_CI_CI
    .private_segment_fixed_size: 0
    .sgpr_count:     22
    .sgpr_spill_count: 0
    .symbol:         bluestein_single_back_len320_dim1_sp_op_CI_CI.kd
    .uniform_work_group_size: 1
    .uses_dynamic_stack: false
    .vgpr_count:     252
    .vgpr_spill_count: 0
    .wavefront_size: 32
    .workgroup_processor_mode: 1
amdhsa.target:   amdgcn-amd-amdhsa--gfx1030
amdhsa.version:
  - 1
  - 2
...

	.end_amdgpu_metadata
